;; amdgpu-corpus repo=ROCm/rocFFT kind=compiled arch=gfx906 opt=O3
	.text
	.amdgcn_target "amdgcn-amd-amdhsa--gfx906"
	.amdhsa_code_object_version 6
	.protected	fft_rtc_fwd_len1500_factors_5_10_10_3_wgs_150_tpt_150_halfLds_dp_op_CI_CI_unitstride_sbrr_dirReg ; -- Begin function fft_rtc_fwd_len1500_factors_5_10_10_3_wgs_150_tpt_150_halfLds_dp_op_CI_CI_unitstride_sbrr_dirReg
	.globl	fft_rtc_fwd_len1500_factors_5_10_10_3_wgs_150_tpt_150_halfLds_dp_op_CI_CI_unitstride_sbrr_dirReg
	.p2align	8
	.type	fft_rtc_fwd_len1500_factors_5_10_10_3_wgs_150_tpt_150_halfLds_dp_op_CI_CI_unitstride_sbrr_dirReg,@function
fft_rtc_fwd_len1500_factors_5_10_10_3_wgs_150_tpt_150_halfLds_dp_op_CI_CI_unitstride_sbrr_dirReg: ; @fft_rtc_fwd_len1500_factors_5_10_10_3_wgs_150_tpt_150_halfLds_dp_op_CI_CI_unitstride_sbrr_dirReg
; %bb.0:
	s_load_dwordx4 s[12:15], s[4:5], 0x58
	s_load_dwordx4 s[8:11], s[4:5], 0x0
	;; [unrolled: 1-line block ×3, first 2 shown]
	v_mul_u32_u24_e32 v1, 0x1b5, v0
	v_add_u32_sdwa v6, s6, v1 dst_sel:DWORD dst_unused:UNUSED_PAD src0_sel:DWORD src1_sel:WORD_1
	v_mov_b32_e32 v1, 0
	s_waitcnt lgkmcnt(0)
	v_cmp_lt_u64_e64 s[0:1], s[10:11], 2
	v_mov_b32_e32 v4, 0
	v_mov_b32_e32 v7, v1
	s_and_b64 vcc, exec, s[0:1]
	v_mov_b32_e32 v5, 0
	s_cbranch_vccnz .LBB0_8
; %bb.1:
	s_load_dwordx2 s[0:1], s[4:5], 0x10
	s_add_u32 s2, s18, 8
	s_addc_u32 s3, s19, 0
	s_add_u32 s6, s16, 8
	v_mov_b32_e32 v4, 0
	s_addc_u32 s7, s17, 0
	v_mov_b32_e32 v5, 0
	s_waitcnt lgkmcnt(0)
	s_add_u32 s20, s0, 8
	v_mov_b32_e32 v41, v5
	s_addc_u32 s21, s1, 0
	s_mov_b64 s[22:23], 1
	v_mov_b32_e32 v40, v4
.LBB0_2:                                ; =>This Inner Loop Header: Depth=1
	s_load_dwordx2 s[24:25], s[20:21], 0x0
                                        ; implicit-def: $vgpr42_vgpr43
	s_waitcnt lgkmcnt(0)
	v_or_b32_e32 v2, s25, v7
	v_cmp_ne_u64_e32 vcc, 0, v[1:2]
	s_and_saveexec_b64 s[0:1], vcc
	s_xor_b64 s[26:27], exec, s[0:1]
	s_cbranch_execz .LBB0_4
; %bb.3:                                ;   in Loop: Header=BB0_2 Depth=1
	v_cvt_f32_u32_e32 v2, s24
	v_cvt_f32_u32_e32 v3, s25
	s_sub_u32 s0, 0, s24
	s_subb_u32 s1, 0, s25
	v_mac_f32_e32 v2, 0x4f800000, v3
	v_rcp_f32_e32 v2, v2
	v_mul_f32_e32 v2, 0x5f7ffffc, v2
	v_mul_f32_e32 v3, 0x2f800000, v2
	v_trunc_f32_e32 v3, v3
	v_mac_f32_e32 v2, 0xcf800000, v3
	v_cvt_u32_f32_e32 v3, v3
	v_cvt_u32_f32_e32 v2, v2
	v_mul_lo_u32 v8, s0, v3
	v_mul_hi_u32 v9, s0, v2
	v_mul_lo_u32 v11, s1, v2
	v_mul_lo_u32 v10, s0, v2
	v_add_u32_e32 v8, v9, v8
	v_add_u32_e32 v8, v8, v11
	v_mul_hi_u32 v9, v2, v10
	v_mul_lo_u32 v11, v2, v8
	v_mul_hi_u32 v13, v2, v8
	v_mul_hi_u32 v12, v3, v10
	v_mul_lo_u32 v10, v3, v10
	v_mul_hi_u32 v14, v3, v8
	v_add_co_u32_e32 v9, vcc, v9, v11
	v_addc_co_u32_e32 v11, vcc, 0, v13, vcc
	v_mul_lo_u32 v8, v3, v8
	v_add_co_u32_e32 v9, vcc, v9, v10
	v_addc_co_u32_e32 v9, vcc, v11, v12, vcc
	v_addc_co_u32_e32 v10, vcc, 0, v14, vcc
	v_add_co_u32_e32 v8, vcc, v9, v8
	v_addc_co_u32_e32 v9, vcc, 0, v10, vcc
	v_add_co_u32_e32 v2, vcc, v2, v8
	v_addc_co_u32_e32 v3, vcc, v3, v9, vcc
	v_mul_lo_u32 v8, s0, v3
	v_mul_hi_u32 v9, s0, v2
	v_mul_lo_u32 v10, s1, v2
	v_mul_lo_u32 v11, s0, v2
	v_add_u32_e32 v8, v9, v8
	v_add_u32_e32 v8, v8, v10
	v_mul_lo_u32 v12, v2, v8
	v_mul_hi_u32 v13, v2, v11
	v_mul_hi_u32 v14, v2, v8
	v_mul_hi_u32 v10, v3, v11
	v_mul_lo_u32 v11, v3, v11
	v_mul_hi_u32 v9, v3, v8
	v_add_co_u32_e32 v12, vcc, v13, v12
	v_addc_co_u32_e32 v13, vcc, 0, v14, vcc
	v_mul_lo_u32 v8, v3, v8
	v_add_co_u32_e32 v11, vcc, v12, v11
	v_addc_co_u32_e32 v10, vcc, v13, v10, vcc
	v_addc_co_u32_e32 v9, vcc, 0, v9, vcc
	v_add_co_u32_e32 v8, vcc, v10, v8
	v_addc_co_u32_e32 v9, vcc, 0, v9, vcc
	v_add_co_u32_e32 v8, vcc, v2, v8
	v_addc_co_u32_e32 v9, vcc, v3, v9, vcc
	v_mad_u64_u32 v[2:3], s[0:1], v6, v9, 0
	v_mul_hi_u32 v10, v6, v8
	v_add_co_u32_e32 v10, vcc, v10, v2
	v_addc_co_u32_e32 v11, vcc, 0, v3, vcc
	v_mad_u64_u32 v[2:3], s[0:1], v7, v8, 0
	v_mad_u64_u32 v[8:9], s[0:1], v7, v9, 0
	v_add_co_u32_e32 v2, vcc, v10, v2
	v_addc_co_u32_e32 v2, vcc, v11, v3, vcc
	v_addc_co_u32_e32 v3, vcc, 0, v9, vcc
	v_add_co_u32_e32 v8, vcc, v2, v8
	v_addc_co_u32_e32 v9, vcc, 0, v3, vcc
	v_mul_lo_u32 v10, s25, v8
	v_mul_lo_u32 v11, s24, v9
	v_mad_u64_u32 v[2:3], s[0:1], s24, v8, 0
	v_add3_u32 v3, v3, v11, v10
	v_sub_u32_e32 v10, v7, v3
	v_mov_b32_e32 v11, s25
	v_sub_co_u32_e32 v2, vcc, v6, v2
	v_subb_co_u32_e64 v10, s[0:1], v10, v11, vcc
	v_subrev_co_u32_e64 v11, s[0:1], s24, v2
	v_subbrev_co_u32_e64 v10, s[0:1], 0, v10, s[0:1]
	v_cmp_le_u32_e64 s[0:1], s25, v10
	v_cndmask_b32_e64 v12, 0, -1, s[0:1]
	v_cmp_le_u32_e64 s[0:1], s24, v11
	v_cndmask_b32_e64 v11, 0, -1, s[0:1]
	v_cmp_eq_u32_e64 s[0:1], s25, v10
	v_cndmask_b32_e64 v10, v12, v11, s[0:1]
	v_add_co_u32_e64 v11, s[0:1], 2, v8
	v_addc_co_u32_e64 v12, s[0:1], 0, v9, s[0:1]
	v_add_co_u32_e64 v13, s[0:1], 1, v8
	v_addc_co_u32_e64 v14, s[0:1], 0, v9, s[0:1]
	v_subb_co_u32_e32 v3, vcc, v7, v3, vcc
	v_cmp_ne_u32_e64 s[0:1], 0, v10
	v_cmp_le_u32_e32 vcc, s25, v3
	v_cndmask_b32_e64 v10, v14, v12, s[0:1]
	v_cndmask_b32_e64 v12, 0, -1, vcc
	v_cmp_le_u32_e32 vcc, s24, v2
	v_cndmask_b32_e64 v2, 0, -1, vcc
	v_cmp_eq_u32_e32 vcc, s25, v3
	v_cndmask_b32_e32 v2, v12, v2, vcc
	v_cmp_ne_u32_e32 vcc, 0, v2
	v_cndmask_b32_e64 v2, v13, v11, s[0:1]
	v_cndmask_b32_e32 v43, v9, v10, vcc
	v_cndmask_b32_e32 v42, v8, v2, vcc
.LBB0_4:                                ;   in Loop: Header=BB0_2 Depth=1
	s_andn2_saveexec_b64 s[0:1], s[26:27]
	s_cbranch_execz .LBB0_6
; %bb.5:                                ;   in Loop: Header=BB0_2 Depth=1
	v_cvt_f32_u32_e32 v2, s24
	s_sub_i32 s26, 0, s24
	v_mov_b32_e32 v43, v1
	v_rcp_iflag_f32_e32 v2, v2
	v_mul_f32_e32 v2, 0x4f7ffffe, v2
	v_cvt_u32_f32_e32 v2, v2
	v_mul_lo_u32 v3, s26, v2
	v_mul_hi_u32 v3, v2, v3
	v_add_u32_e32 v2, v2, v3
	v_mul_hi_u32 v2, v6, v2
	v_mul_lo_u32 v3, v2, s24
	v_add_u32_e32 v8, 1, v2
	v_sub_u32_e32 v3, v6, v3
	v_subrev_u32_e32 v9, s24, v3
	v_cmp_le_u32_e32 vcc, s24, v3
	v_cndmask_b32_e32 v3, v3, v9, vcc
	v_cndmask_b32_e32 v2, v2, v8, vcc
	v_add_u32_e32 v8, 1, v2
	v_cmp_le_u32_e32 vcc, s24, v3
	v_cndmask_b32_e32 v42, v2, v8, vcc
.LBB0_6:                                ;   in Loop: Header=BB0_2 Depth=1
	s_or_b64 exec, exec, s[0:1]
	v_mul_lo_u32 v8, v43, s24
	v_mul_lo_u32 v9, v42, s25
	v_mad_u64_u32 v[2:3], s[0:1], v42, s24, 0
	s_load_dwordx2 s[0:1], s[6:7], 0x0
	s_load_dwordx2 s[24:25], s[2:3], 0x0
	v_add3_u32 v3, v3, v9, v8
	v_sub_co_u32_e32 v2, vcc, v6, v2
	v_subb_co_u32_e32 v3, vcc, v7, v3, vcc
	s_waitcnt lgkmcnt(0)
	v_mul_lo_u32 v6, s0, v3
	v_mul_lo_u32 v7, s1, v2
	v_mad_u64_u32 v[4:5], s[0:1], s0, v2, v[4:5]
	v_mul_lo_u32 v3, s24, v3
	v_mul_lo_u32 v8, s25, v2
	v_mad_u64_u32 v[40:41], s[0:1], s24, v2, v[40:41]
	s_add_u32 s22, s22, 1
	s_addc_u32 s23, s23, 0
	s_add_u32 s2, s2, 8
	v_add3_u32 v41, v8, v41, v3
	s_addc_u32 s3, s3, 0
	v_mov_b32_e32 v2, s10
	s_add_u32 s6, s6, 8
	v_mov_b32_e32 v3, s11
	s_addc_u32 s7, s7, 0
	v_cmp_ge_u64_e32 vcc, s[22:23], v[2:3]
	s_add_u32 s20, s20, 8
	v_add3_u32 v5, v7, v5, v6
	s_addc_u32 s21, s21, 0
	s_cbranch_vccnz .LBB0_9
; %bb.7:                                ;   in Loop: Header=BB0_2 Depth=1
	v_mov_b32_e32 v6, v42
	v_mov_b32_e32 v7, v43
	s_branch .LBB0_2
.LBB0_8:
	v_mov_b32_e32 v41, v5
	v_mov_b32_e32 v43, v7
	;; [unrolled: 1-line block ×4, first 2 shown]
.LBB0_9:
	s_load_dwordx2 s[4:5], s[4:5], 0x28
	s_lshl_b64 s[6:7], s[10:11], 3
	s_add_u32 s2, s18, s6
	s_addc_u32 s3, s19, s7
                                        ; implicit-def: $vgpr72
	s_waitcnt lgkmcnt(0)
	v_cmp_gt_u64_e64 s[0:1], s[4:5], v[42:43]
	v_cmp_le_u64_e32 vcc, s[4:5], v[42:43]
	s_and_saveexec_b64 s[4:5], vcc
	s_xor_b64 s[4:5], exec, s[4:5]
; %bb.10:
	s_mov_b32 s10, 0x1b4e81c
	v_mul_hi_u32 v1, v0, s10
                                        ; implicit-def: $vgpr4_vgpr5
	v_mul_u32_u24_e32 v1, 0x96, v1
	v_sub_u32_e32 v72, v0, v1
                                        ; implicit-def: $vgpr0
; %bb.11:
	s_or_saveexec_b64 s[4:5], s[4:5]
                                        ; implicit-def: $vgpr14_vgpr15
                                        ; implicit-def: $vgpr10_vgpr11
                                        ; implicit-def: $vgpr22_vgpr23
                                        ; implicit-def: $vgpr18_vgpr19
                                        ; implicit-def: $vgpr2_vgpr3
                                        ; implicit-def: $vgpr26_vgpr27
                                        ; implicit-def: $vgpr30_vgpr31
                                        ; implicit-def: $vgpr38_vgpr39
                                        ; implicit-def: $vgpr34_vgpr35
                                        ; implicit-def: $vgpr6_vgpr7
	s_xor_b64 exec, exec, s[4:5]
	s_cbranch_execz .LBB0_13
; %bb.12:
	s_add_u32 s6, s16, s6
	s_addc_u32 s7, s17, s7
	s_load_dwordx2 s[6:7], s[6:7], 0x0
	s_mov_b32 s10, 0x1b4e81c
	v_mul_hi_u32 v3, v0, s10
	s_waitcnt lgkmcnt(0)
	v_mul_lo_u32 v6, s7, v42
	v_mul_lo_u32 v7, s6, v43
	v_mad_u64_u32 v[1:2], s[6:7], s6, v42, 0
	v_mul_u32_u24_e32 v3, 0x96, v3
	v_sub_u32_e32 v72, v0, v3
	v_add3_u32 v2, v2, v7, v6
	v_lshlrev_b64 v[0:1], 4, v[1:2]
	v_mov_b32_e32 v2, s13
	v_add_co_u32_e32 v3, vcc, s12, v0
	v_addc_co_u32_e32 v2, vcc, v2, v1, vcc
	v_lshlrev_b64 v[0:1], 4, v[4:5]
	s_movk_i32 s6, 0x1000
	v_add_co_u32_e32 v0, vcc, v3, v0
	v_addc_co_u32_e32 v1, vcc, v2, v1, vcc
	v_lshlrev_b32_e32 v2, 4, v72
	v_add_co_u32_e32 v8, vcc, v0, v2
	v_addc_co_u32_e32 v9, vcc, 0, v1, vcc
	v_add_co_u32_e32 v44, vcc, s6, v8
	v_addc_co_u32_e32 v45, vcc, 0, v9, vcc
	s_movk_i32 s6, 0x2000
	v_add_co_u32_e32 v46, vcc, s6, v8
	v_addc_co_u32_e32 v47, vcc, 0, v9, vcc
	s_movk_i32 s6, 0x3000
	;; [unrolled: 3-line block ×3, first 2 shown]
	v_add_co_u32_e32 v50, vcc, s6, v8
	v_addc_co_u32_e32 v51, vcc, 0, v9, vcc
	v_add_co_u32_e32 v52, vcc, 0x5000, v8
	global_load_dwordx4 v[4:7], v[8:9], off
	global_load_dwordx4 v[0:3], v[8:9], off offset:2400
	v_addc_co_u32_e32 v53, vcc, 0, v9, vcc
	global_load_dwordx4 v[32:35], v[44:45], off offset:704
	global_load_dwordx4 v[16:19], v[44:45], off offset:3104
	;; [unrolled: 1-line block ×8, first 2 shown]
.LBB0_13:
	s_or_b64 exec, exec, s[4:5]
	s_waitcnt vmcnt(7)
	v_add_f64 v[44:45], v[32:33], v[4:5]
	v_add_f64 v[46:47], v[34:35], v[6:7]
	s_waitcnt vmcnt(3)
	v_add_f64 v[48:49], v[28:29], v[36:37]
	v_add_f64 v[52:53], v[32:33], -v[36:37]
	v_add_f64 v[54:55], v[36:37], -v[32:33]
	v_add_f64 v[58:59], v[36:37], -v[28:29]
	v_add_f64 v[50:51], v[38:39], -v[30:31]
	v_add_f64 v[56:57], v[30:31], v[38:39]
	v_add_f64 v[36:37], v[36:37], v[44:45]
	;; [unrolled: 1-line block ×3, first 2 shown]
	v_add_f64 v[46:47], v[34:35], -v[38:39]
	v_add_f64 v[38:39], v[38:39], -v[34:35]
	s_waitcnt vmcnt(1)
	v_add_f64 v[60:61], v[34:35], -v[26:27]
	v_add_f64 v[34:35], v[26:27], v[34:35]
	v_add_f64 v[68:69], v[16:17], v[0:1]
	;; [unrolled: 1-line block ×6, first 2 shown]
	v_add_f64 v[66:67], v[26:27], -v[30:31]
	v_add_f64 v[30:31], v[30:31], -v[26:27]
	v_fma_f64 v[34:35], v[34:35], -0.5, v[6:7]
	v_add_f64 v[32:33], v[32:33], -v[24:25]
	v_add_f64 v[64:65], v[24:25], -v[28:29]
	;; [unrolled: 1-line block ×3, first 2 shown]
	v_add_f64 v[44:45], v[26:27], v[44:45]
	v_fma_f64 v[26:27], v[48:49], -0.5, v[4:5]
	v_fma_f64 v[48:49], v[56:57], -0.5, v[6:7]
	v_add_f64 v[6:7], v[20:21], v[68:69]
	v_add_f64 v[24:25], v[24:25], v[36:37]
	;; [unrolled: 1-line block ×3, first 2 shown]
	v_fma_f64 v[4:5], v[62:63], -0.5, v[4:5]
	v_add_f64 v[56:57], v[8:9], v[20:21]
	v_add_f64 v[62:63], v[22:23], -v[10:11]
	v_add_f64 v[73:74], v[10:11], v[22:23]
	v_add_f64 v[77:78], v[18:19], -v[22:23]
	v_add_f64 v[79:80], v[22:23], -v[18:19]
	s_waitcnt vmcnt(0)
	v_add_f64 v[22:23], v[12:13], v[16:17]
	v_add_f64 v[6:7], v[8:9], v[6:7]
	;; [unrolled: 1-line block ×3, first 2 shown]
	s_mov_b32 s10, 0x134454ff
	s_mov_b32 s11, 0x3fee6f0e
	v_add_f64 v[68:69], v[16:17], -v[20:21]
	v_add_f64 v[70:71], v[20:21], -v[16:17]
	;; [unrolled: 1-line block ×5, first 2 shown]
	v_add_f64 v[16:17], v[14:15], v[18:19]
	v_add_f64 v[18:19], v[12:13], -v[8:9]
	v_add_f64 v[8:9], v[8:9], -v[12:13]
	v_add_f64 v[6:7], v[12:13], v[6:7]
	v_fma_f64 v[12:13], v[56:57], -0.5, v[0:1]
	v_fma_f64 v[0:1], v[22:23], -0.5, v[0:1]
	v_add_f64 v[22:23], v[28:29], v[54:55]
	v_fma_f64 v[28:29], v[60:61], s[10:11], v[26:27]
	s_mov_b32 s7, 0xbfee6f0e
	s_mov_b32 s6, s10
	v_add_f64 v[83:84], v[14:15], -v[10:11]
	v_add_f64 v[10:11], v[10:11], -v[14:15]
	v_add_f64 v[85:86], v[14:15], v[36:37]
	v_fma_f64 v[14:15], v[50:51], s[6:7], v[4:5]
	v_fma_f64 v[4:5], v[50:51], s[10:11], v[4:5]
	s_mov_b32 s18, 0x4755a5e
	s_mov_b32 s19, 0x3fe2cf23
	v_fma_f64 v[54:55], v[73:74], -0.5, v[2:3]
	v_fma_f64 v[56:57], v[16:17], -0.5, v[2:3]
	v_add_f64 v[2:3], v[64:65], v[52:53]
	v_fma_f64 v[16:17], v[50:51], s[18:19], v[28:29]
	s_mov_b32 s13, 0xbfe2cf23
	s_mov_b32 s12, s18
	v_fma_f64 v[14:15], v[60:61], s[18:19], v[14:15]
	v_fma_f64 v[4:5], v[60:61], s[12:13], v[4:5]
	v_fma_f64 v[28:29], v[62:63], s[6:7], v[0:1]
	s_mov_b32 s16, 0x372fe950
	s_mov_b32 s17, 0x3fd3c6ef
	v_fma_f64 v[0:1], v[62:63], s[10:11], v[0:1]
	v_fma_f64 v[16:17], v[2:3], s[16:17], v[16:17]
	v_add_f64 v[8:9], v[8:9], v[70:71]
	v_fma_f64 v[14:15], v[22:23], s[16:17], v[14:15]
	v_fma_f64 v[4:5], v[22:23], s[16:17], v[4:5]
	;; [unrolled: 1-line block ×6, first 2 shown]
	v_mad_u32_u24 v36, v72, 40, 0
	v_fma_f64 v[12:13], v[20:21], s[6:7], v[12:13]
	v_fma_f64 v[0:1], v[20:21], s[12:13], v[0:1]
	ds_write2_b64 v36, v[24:25], v[16:17] offset1:1
	v_fma_f64 v[16:17], v[32:33], s[6:7], v[48:49]
	v_fma_f64 v[34:35], v[58:59], s[6:7], v[34:35]
	;; [unrolled: 1-line block ×4, first 2 shown]
	ds_write2_b64 v36, v[14:15], v[4:5] offset0:2 offset1:3
	v_fma_f64 v[14:15], v[8:9], s[16:17], v[28:29]
	v_add_f64 v[29:30], v[30:31], v[38:39]
	v_fma_f64 v[38:39], v[32:33], s[12:13], v[52:53]
	v_fma_f64 v[52:53], v[75:76], s[10:11], v[56:57]
	;; [unrolled: 1-line block ×3, first 2 shown]
	v_add_f64 v[18:19], v[18:19], v[68:69]
	v_fma_f64 v[22:23], v[62:63], s[18:19], v[22:23]
	v_fma_f64 v[54:55], v[81:82], s[10:11], v[54:55]
	;; [unrolled: 1-line block ×5, first 2 shown]
	v_add_f64 v[46:47], v[66:67], v[46:47]
	v_fma_f64 v[8:9], v[58:59], s[12:13], v[16:17]
	v_fma_f64 v[31:32], v[32:33], s[18:19], v[34:35]
	;; [unrolled: 1-line block ×3, first 2 shown]
	v_add_f64 v[48:49], v[83:84], v[77:78]
	v_fma_f64 v[58:59], v[75:76], s[12:13], v[60:61]
	v_add_f64 v[10:11], v[10:11], v[79:80]
	v_fma_f64 v[52:53], v[81:82], s[12:13], v[52:53]
	v_fma_f64 v[56:57], v[81:82], s[18:19], v[56:57]
	;; [unrolled: 1-line block ×11, first 2 shown]
	v_add_u32_e32 v62, 0x1770, v36
	v_fma_f64 v[33:34], v[10:11], s[16:17], v[52:53]
	v_fma_f64 v[10:11], v[10:11], s[16:17], v[56:57]
	ds_write2_b64 v62, v[6:7], v[4:5] offset1:1
	v_add_u32_e32 v5, 0x1780, v36
	s_load_dwordx2 s[4:5], s[2:3], 0x0
	v_lshlrev_b32_e32 v37, 5, v72
	v_fma_f64 v[48:49], v[48:49], s[16:17], v[54:55]
	s_movk_i32 s2, 0xcd
	ds_write2_b64 v5, v[14:15], v[0:1] offset1:1
	ds_write_b64 v36, v[2:3] offset:32
	ds_write_b64 v36, v[12:13] offset:6032
	v_sub_u32_e32 v0, v36, v37
	v_mul_lo_u16_sdwa v3, v72, s2 dst_sel:DWORD dst_unused:UNUSED_PAD src0_sel:BYTE_0 src1_sel:DWORD
	v_add_u32_e32 v4, 0x800, v0
	v_lshrrev_b16_e32 v3, 10, v3
	s_waitcnt lgkmcnt(0)
	s_barrier
	v_add_u32_e32 v2, 0x1000, v0
	v_add_u32_e32 v12, 0x1c00, v0
	;; [unrolled: 1-line block ×3, first 2 shown]
	ds_read2_b64 v[6:9], v0 offset1:150
	ds_read2_b64 v[13:16], v4 offset0:44 offset1:194
	ds_read2_b64 v[17:20], v2 offset0:88 offset1:238
	;; [unrolled: 1-line block ×4, first 2 shown]
	s_waitcnt lgkmcnt(0)
	s_barrier
	ds_write2_b64 v36, v[44:45], v[50:51] offset1:1
	ds_write2_b64 v36, v[38:39], v[29:30] offset0:2 offset1:3
	ds_write_b64 v36, v[31:32] offset:32
	ds_write2_b64 v62, v[85:86], v[46:47] offset1:1
	ds_write2_b64 v5, v[33:34], v[10:11] offset1:1
	ds_write_b64 v36, v[48:49] offset:6032
	v_mul_lo_u16_e32 v5, 5, v3
	v_sub_u16_e32 v35, v72, v5
	v_mov_b32_e32 v5, 9
	v_mul_u32_u24_sdwa v10, v35, v5 dst_sel:DWORD dst_unused:UNUSED_PAD src0_sel:BYTE_0 src1_sel:DWORD
	v_lshlrev_b32_e32 v10, 4, v10
	s_waitcnt lgkmcnt(0)
	s_barrier
	global_load_dwordx4 v[29:32], v10, s[8:9] offset:16
	global_load_dwordx4 v[44:47], v10, s[8:9] offset:32
	;; [unrolled: 1-line block ×8, first 2 shown]
	global_load_dwordx4 v[73:76], v10, s[8:9]
	ds_read2_b64 v[77:80], v4 offset0:44 offset1:194
	ds_read2_b64 v[81:84], v12 offset0:4 offset1:154
	s_mov_b32 s20, 0x9b97f4a8
	s_mov_b32 s21, 0x3fe9e377
	v_mul_u32_u24_e32 v99, 0x190, v3
	v_mov_b32_e32 v3, 3
	v_lshlrev_b32_sdwa v35, v3, v35 dst_sel:DWORD dst_unused:UNUSED_PAD src0_sel:DWORD src1_sel:BYTE_0
	v_sub_u32_e32 v37, 0, v37
	v_cmp_gt_u32_e64 s[2:3], 50, v72
	s_waitcnt vmcnt(8) lgkmcnt(1)
	v_mul_f64 v[10:11], v[77:78], v[31:32]
	v_mul_f64 v[38:39], v[13:14], v[31:32]
	ds_read2_b64 v[31:34], v2 offset0:88 offset1:238
	s_waitcnt vmcnt(7)
	v_mul_f64 v[85:86], v[79:80], v[46:47]
	v_fma_f64 v[10:11], v[13:14], v[29:30], -v[10:11]
	v_mul_f64 v[13:14], v[15:16], v[46:47]
	v_fma_f64 v[29:30], v[77:78], v[29:30], v[38:39]
	s_waitcnt vmcnt(6) lgkmcnt(0)
	v_mul_f64 v[38:39], v[31:32], v[50:51]
	v_mul_f64 v[46:47], v[17:18], v[50:51]
	s_waitcnt vmcnt(5)
	v_mul_f64 v[50:51], v[33:34], v[54:55]
	v_mul_f64 v[54:55], v[19:20], v[54:55]
	v_fma_f64 v[77:78], v[15:16], v[44:45], -v[85:86]
	v_fma_f64 v[44:45], v[79:80], v[44:45], v[13:14]
	s_waitcnt vmcnt(4)
	v_mul_f64 v[79:80], v[81:82], v[58:59]
	v_mul_f64 v[58:59], v[21:22], v[58:59]
	v_fma_f64 v[38:39], v[17:18], v[48:49], -v[38:39]
	v_fma_f64 v[31:32], v[31:32], v[48:49], v[46:47]
	v_fma_f64 v[33:34], v[33:34], v[52:53], v[54:55]
	s_waitcnt vmcnt(3)
	v_mul_f64 v[48:49], v[83:84], v[62:63]
	v_mul_f64 v[54:55], v[23:24], v[62:63]
	s_waitcnt vmcnt(1)
	v_mul_f64 v[62:63], v[27:28], v[70:71]
	v_fma_f64 v[46:47], v[19:20], v[52:53], -v[50:51]
	ds_read2_b64 v[13:16], v1 offset0:48 offset1:198
	ds_read2_b64 v[17:20], v0 offset1:150
	v_fma_f64 v[21:22], v[21:22], v[56:57], -v[79:80]
	v_fma_f64 v[50:51], v[81:82], v[56:57], v[58:59]
	v_mul_f64 v[56:57], v[25:26], v[66:67]
	s_waitcnt lgkmcnt(1)
	v_mul_f64 v[52:53], v[13:14], v[66:67]
	v_mul_f64 v[58:59], v[15:16], v[70:71]
	s_waitcnt vmcnt(0) lgkmcnt(0)
	v_mul_f64 v[66:67], v[19:20], v[75:76]
	v_fma_f64 v[23:24], v[23:24], v[60:61], -v[48:49]
	v_fma_f64 v[48:49], v[83:84], v[60:61], v[54:55]
	v_fma_f64 v[15:16], v[15:16], v[68:69], v[62:63]
	v_mul_f64 v[70:71], v[8:9], v[75:76]
	v_fma_f64 v[13:14], v[13:14], v[64:65], v[56:57]
	v_fma_f64 v[25:26], v[25:26], v[64:65], -v[52:53]
	v_fma_f64 v[27:28], v[27:28], v[68:69], -v[58:59]
	;; [unrolled: 1-line block ×3, first 2 shown]
	v_add_f64 v[66:67], v[44:45], -v[33:34]
	v_add_f64 v[56:57], v[10:11], -v[38:39]
	;; [unrolled: 1-line block ×3, first 2 shown]
	v_fma_f64 v[19:20], v[19:20], v[73:74], v[70:71]
	v_add_f64 v[64:65], v[33:34], v[48:49]
	v_add_f64 v[58:59], v[25:26], -v[21:22]
	v_add_f64 v[54:55], v[10:11], v[25:26]
	v_add_f64 v[89:90], v[44:45], v[15:16]
	v_add_f64 v[91:92], v[77:78], v[27:28]
	v_add_f64 v[70:71], v[77:78], -v[27:28]
	v_add_f64 v[66:67], v[66:67], v[68:69]
	v_add_f64 v[68:69], v[8:9], v[77:78]
	v_fma_f64 v[64:65], v[64:65], -0.5, v[19:20]
	v_add_f64 v[56:57], v[56:57], v[58:59]
	v_add_f64 v[58:59], v[46:47], v[23:24]
	v_add_f64 v[60:61], v[77:78], -v[46:47]
	v_add_f64 v[62:63], v[27:28], -v[23:24]
	v_fma_f64 v[54:55], v[54:55], -0.5, v[6:7]
	v_add_f64 v[79:80], v[46:47], -v[23:24]
	v_add_f64 v[68:69], v[68:69], v[46:47]
	v_add_f64 v[83:84], v[31:32], -v[50:51]
	v_add_f64 v[87:88], v[33:34], -v[48:49]
	v_fma_f64 v[58:59], v[58:59], -0.5, v[8:9]
	v_fma_f64 v[89:90], v[89:90], -0.5, v[19:20]
	;; [unrolled: 1-line block ×3, first 2 shown]
	v_add_f64 v[91:92], v[33:34], -v[44:45]
	v_add_f64 v[93:94], v[48:49], -v[15:16]
	v_add_f64 v[68:69], v[68:69], v[23:24]
	v_add_f64 v[46:47], v[46:47], -v[77:78]
	v_add_f64 v[23:24], v[23:24], -v[27:28]
	v_add_f64 v[52:53], v[38:39], v[21:22]
	v_add_f64 v[73:74], v[44:45], -v[15:16]
	v_fma_f64 v[75:76], v[70:71], s[6:7], v[64:65]
	v_add_f64 v[60:61], v[60:61], v[62:63]
	v_add_f64 v[62:63], v[29:30], -v[13:14]
	v_add_f64 v[68:69], v[68:69], v[27:28]
	v_fma_f64 v[77:78], v[79:80], s[10:11], v[89:90]
	v_fma_f64 v[27:28], v[87:88], s[10:11], v[8:9]
	v_add_f64 v[95:96], v[38:39], -v[10:11]
	v_add_f64 v[91:92], v[91:92], v[93:94]
	v_add_f64 v[23:24], v[46:47], v[23:24]
	v_add_f64 v[46:47], v[21:22], -v[25:26]
	v_fma_f64 v[93:94], v[83:84], s[6:7], v[54:55]
	v_fma_f64 v[54:55], v[83:84], s[10:11], v[54:55]
	v_fma_f64 v[52:53], v[52:53], -0.5, v[6:7]
	v_add_f64 v[6:7], v[6:7], v[10:11]
	v_fma_f64 v[85:86], v[73:74], s[10:11], v[58:59]
	v_fma_f64 v[75:76], v[79:80], s[12:13], v[75:76]
	;; [unrolled: 1-line block ×6, first 2 shown]
	v_add_f64 v[46:47], v[95:96], v[46:47]
	v_fma_f64 v[93:94], v[62:63], s[18:19], v[93:94]
	v_fma_f64 v[54:55], v[62:63], s[12:13], v[54:55]
	;; [unrolled: 1-line block ×3, first 2 shown]
	v_add_f64 v[6:7], v[6:7], v[38:39]
	v_fma_f64 v[81:82], v[62:63], s[10:11], v[52:53]
	v_fma_f64 v[85:86], v[87:88], s[18:19], v[85:86]
	;; [unrolled: 1-line block ×11, first 2 shown]
	v_add_f64 v[6:7], v[6:7], v[21:22]
	v_fma_f64 v[81:82], v[83:84], s[18:19], v[81:82]
	v_fma_f64 v[85:86], v[60:61], s[16:17], v[85:86]
	v_mul_f64 v[97:98], v[75:76], s[18:19]
	v_fma_f64 v[8:9], v[23:24], s[16:17], v[8:9]
	v_fma_f64 v[23:24], v[91:92], s[16:17], v[89:90]
	v_mul_f64 v[89:90], v[77:78], s[10:11]
	v_mul_f64 v[73:74], v[27:28], s[16:17]
	v_fma_f64 v[52:53], v[62:63], s[6:7], v[52:53]
	v_fma_f64 v[54:55], v[79:80], s[18:19], v[54:55]
	;; [unrolled: 1-line block ×3, first 2 shown]
	v_add_f64 v[6:7], v[6:7], v[25:26]
	v_fma_f64 v[81:82], v[56:57], s[16:17], v[81:82]
	v_fma_f64 v[91:92], v[85:86], s[20:21], v[97:98]
	;; [unrolled: 1-line block ×3, first 2 shown]
	v_fma_f64 v[70:71], v[23:24], s[10:11], -v[73:74]
	v_fma_f64 v[52:53], v[83:84], s[12:13], v[52:53]
	v_fma_f64 v[54:55], v[66:67], s[16:17], v[54:55]
	v_mul_f64 v[66:67], v[58:59], s[20:21]
	v_add_f64 v[62:63], v[6:7], v[68:69]
	v_add_f64 v[19:20], v[19:20], v[44:45]
	;; [unrolled: 1-line block ×5, first 2 shown]
	v_fma_f64 v[52:53], v[56:57], s[16:17], v[52:53]
	v_add_f64 v[10:11], v[10:11], -v[25:26]
	v_fma_f64 v[56:57], v[54:55], s[18:19], -v[66:67]
	v_add_f64 v[25:26], v[17:18], v[29:30]
	v_add3_u32 v87, 0, v99, v35
	s_barrier
	ds_write2_b64 v87, v[62:63], v[73:74] offset1:5
	ds_write2_b64 v87, v[60:61], v[79:80] offset0:10 offset1:15
	v_add_f64 v[60:61], v[31:32], v[50:51]
	v_add_f64 v[6:7], v[6:7], -v[68:69]
	v_add_f64 v[19:20], v[19:20], v[33:34]
	v_add_f64 v[38:39], v[38:39], -v[21:22]
	v_add_f64 v[21:22], v[25:26], v[31:32]
	v_add_f64 v[66:67], v[52:53], v[56:57]
	v_add_f64 v[52:53], v[52:53], -v[56:57]
	v_add_f64 v[56:57], v[29:30], v[13:14]
	v_add_f64 v[44:45], v[81:82], -v[91:92]
	v_add_f64 v[62:63], v[93:94], -v[64:65]
	v_fma_f64 v[60:61], v[60:61], -0.5, v[17:18]
	v_add_f64 v[46:47], v[46:47], -v[70:71]
	v_add_f64 v[33:34], v[29:30], -v[31:32]
	;; [unrolled: 1-line block ×3, first 2 shown]
	v_add_f64 v[19:20], v[19:20], v[48:49]
	v_add_f64 v[21:22], v[21:22], v[50:51]
	ds_write2_b64 v87, v[66:67], v[6:7] offset0:20 offset1:25
	ds_write2_b64 v87, v[44:45], v[62:63] offset0:30 offset1:35
	v_fma_f64 v[6:7], v[56:57], -0.5, v[17:18]
	v_fma_f64 v[25:26], v[10:11], s[6:7], v[60:61]
	ds_write2_b64 v87, v[46:47], v[52:53] offset0:40 offset1:45
	v_add_f64 v[17:18], v[31:32], -v[29:30]
	v_add_f64 v[48:49], v[33:34], v[64:65]
	v_mul_f64 v[33:34], v[85:86], s[12:13]
	v_add_f64 v[52:53], v[19:20], v[15:16]
	v_add_f64 v[62:63], v[21:22], v[13:14]
	v_add_f64 v[19:20], v[50:51], -v[13:14]
	v_fma_f64 v[21:22], v[38:39], s[10:11], v[6:7]
	v_fma_f64 v[6:7], v[38:39], s[6:7], v[6:7]
	;; [unrolled: 1-line block ×5, first 2 shown]
	v_mul_f64 v[44:45], v[8:9], s[6:7]
	s_waitcnt lgkmcnt(0)
	v_add_f64 v[31:32], v[17:18], v[19:20]
	v_fma_f64 v[33:34], v[10:11], s[12:13], v[21:22]
	v_fma_f64 v[10:11], v[10:11], s[18:19], v[6:7]
	v_mul_f64 v[22:23], v[23:24], s[16:17]
	v_fma_f64 v[29:30], v[38:39], s[18:19], v[29:30]
	v_mul_f64 v[38:39], v[54:55], s[20:21]
	v_fma_f64 v[25:26], v[48:49], s[16:17], v[25:26]
	v_fma_f64 v[54:55], v[77:78], s[16:17], v[44:45]
	s_barrier
	v_fma_f64 v[50:51], v[31:32], s[16:17], v[33:34]
	v_fma_f64 v[10:11], v[31:32], s[16:17], v[10:11]
	v_fma_f64 v[22:23], v[27:28], s[6:7], -v[22:23]
	v_fma_f64 v[27:28], v[48:49], s[16:17], v[29:30]
	v_fma_f64 v[29:30], v[58:59], s[12:13], -v[38:39]
	v_add_f64 v[38:39], v[62:63], v[52:53]
	v_add_f64 v[48:49], v[25:26], v[56:57]
	v_add_f64 v[52:53], v[62:63], -v[52:53]
	v_add_f64 v[58:59], v[50:51], v[54:55]
	v_add_f64 v[50:51], v[50:51], -v[54:55]
	;; [unrolled: 2-line block ×4, first 2 shown]
	v_add_f64 v[22:23], v[27:28], -v[29:30]
	ds_read2_b64 v[13:16], v0 offset1:150
	ds_read2_b64 v[6:9], v4 offset0:44 offset1:194
	ds_read2_b64 v[18:21], v2 offset0:88 offset1:238
	;; [unrolled: 1-line block ×4, first 2 shown]
	s_waitcnt lgkmcnt(0)
	s_barrier
	ds_write2_b64 v87, v[38:39], v[48:49] offset1:5
	ds_write2_b64 v87, v[58:59], v[60:61] offset0:10 offset1:15
	ds_write2_b64 v87, v[54:55], v[52:53] offset0:20 offset1:25
	;; [unrolled: 1-line block ×4, first 2 shown]
	v_mov_b32_e32 v10, 41
	v_mul_lo_u16_sdwa v10, v72, v10 dst_sel:DWORD dst_unused:UNUSED_PAD src0_sel:BYTE_0 src1_sel:DWORD
	v_lshrrev_b16_e32 v17, 11, v10
	v_mul_lo_u16_e32 v10, 50, v17
	v_sub_u16_e32 v93, v72, v10
	v_mul_u32_u24_sdwa v5, v93, v5 dst_sel:DWORD dst_unused:UNUSED_PAD src0_sel:BYTE_0 src1_sel:DWORD
	v_lshlrev_b32_e32 v5, 4, v5
	s_waitcnt lgkmcnt(0)
	s_barrier
	global_load_dwordx4 v[22:25], v5, s[8:9] offset:736
	global_load_dwordx4 v[28:31], v5, s[8:9] offset:752
	;; [unrolled: 1-line block ×9, first 2 shown]
	ds_read2_b64 v[77:80], v4 offset0:44 offset1:194
	ds_read2_b64 v[81:84], v2 offset0:88 offset1:238
	;; [unrolled: 1-line block ×3, first 2 shown]
	s_waitcnt vmcnt(8) lgkmcnt(2)
	v_mul_f64 v[10:11], v[77:78], v[24:25]
	s_waitcnt vmcnt(7)
	v_mul_f64 v[38:39], v[79:80], v[30:31]
	v_mul_f64 v[24:25], v[6:7], v[24:25]
	v_fma_f64 v[26:27], v[6:7], v[22:23], -v[10:11]
	v_mul_f64 v[5:6], v[8:9], v[30:31]
	s_waitcnt vmcnt(6) lgkmcnt(1)
	v_mul_f64 v[10:11], v[81:82], v[50:51]
	v_mul_f64 v[50:51], v[18:19], v[50:51]
	v_fma_f64 v[38:39], v[8:9], v[28:29], -v[38:39]
	s_waitcnt vmcnt(5)
	v_mul_f64 v[7:8], v[83:84], v[54:55]
	v_mul_f64 v[54:55], v[20:21], v[54:55]
	v_fma_f64 v[22:23], v[77:78], v[22:23], v[24:25]
	v_fma_f64 v[24:25], v[79:80], v[28:29], v[5:6]
	ds_read2_b64 v[77:80], v1 offset0:48 offset1:198
	v_fma_f64 v[30:31], v[18:19], v[48:49], -v[10:11]
	v_fma_f64 v[18:19], v[81:82], v[48:49], v[50:51]
	s_waitcnt vmcnt(4) lgkmcnt(1)
	v_mul_f64 v[5:6], v[85:86], v[58:59]
	v_fma_f64 v[1:2], v[20:21], v[52:53], -v[7:8]
	v_mul_f64 v[28:29], v[32:33], v[58:59]
	v_fma_f64 v[20:21], v[83:84], v[52:53], v[54:55]
	s_waitcnt vmcnt(3)
	v_mul_f64 v[50:51], v[87:88], v[62:63]
	s_waitcnt vmcnt(2) lgkmcnt(0)
	v_mul_f64 v[52:53], v[77:78], v[66:67]
	ds_read2_b64 v[8:11], v0 offset1:150
	s_waitcnt vmcnt(0)
	v_mul_f64 v[58:59], v[46:47], v[75:76]
	v_fma_f64 v[48:49], v[32:33], v[56:57], -v[5:6]
	v_mul_f64 v[5:6], v[34:35], v[62:63]
	v_fma_f64 v[32:33], v[85:86], v[56:57], v[28:29]
	s_waitcnt lgkmcnt(0)
	v_mul_f64 v[56:57], v[10:11], v[70:71]
	v_fma_f64 v[34:35], v[34:35], v[60:61], -v[50:51]
	v_fma_f64 v[50:51], v[44:45], v[64:65], -v[52:53]
	v_mul_f64 v[52:53], v[79:80], v[75:76]
	v_mul_f64 v[54:55], v[44:45], v[66:67]
	v_add_f64 v[66:67], v[24:25], -v[20:21]
	v_fma_f64 v[44:45], v[87:88], v[60:61], v[5:6]
	v_mul_f64 v[5:6], v[15:16], v[70:71]
	v_fma_f64 v[15:16], v[15:16], v[68:69], -v[56:57]
	v_add_f64 v[56:57], v[30:31], v[48:49]
	v_add_f64 v[62:63], v[50:51], -v[48:49]
	v_fma_f64 v[52:53], v[46:47], v[73:74], -v[52:53]
	v_fma_f64 v[46:47], v[79:80], v[73:74], v[58:59]
	v_add_f64 v[58:59], v[26:27], -v[30:31]
	v_add_f64 v[60:61], v[26:27], v[50:51]
	v_fma_f64 v[28:29], v[77:78], v[64:65], v[54:55]
	v_fma_f64 v[54:55], v[10:11], v[68:69], v[5:6]
	v_add_f64 v[5:6], v[15:16], v[38:39]
	v_add_f64 v[70:71], v[30:31], -v[26:27]
	v_add_f64 v[73:74], v[48:49], -v[50:51]
	v_fma_f64 v[10:11], v[56:57], -0.5, v[13:14]
	v_add_f64 v[75:76], v[58:59], v[62:63]
	v_add_f64 v[58:59], v[1:2], v[34:35]
	;; [unrolled: 1-line block ×3, first 2 shown]
	v_fma_f64 v[56:57], v[60:61], -0.5, v[13:14]
	v_add_f64 v[60:61], v[38:39], -v[1:2]
	v_add_f64 v[64:65], v[52:53], -v[34:35]
	v_add_f64 v[5:6], v[5:6], v[1:2]
	v_add_f64 v[73:74], v[70:71], v[73:74]
	v_add_f64 v[70:71], v[20:21], -v[44:45]
	v_fma_f64 v[58:59], v[58:59], -0.5, v[15:16]
	v_fma_f64 v[15:16], v[62:63], -0.5, v[15:16]
	v_add_f64 v[62:63], v[24:25], v[46:47]
	v_add_f64 v[68:69], v[46:47], -v[44:45]
	v_add_f64 v[77:78], v[60:61], v[64:65]
	v_add_f64 v[64:65], v[20:21], v[44:45]
	;; [unrolled: 1-line block ×3, first 2 shown]
	v_add_f64 v[79:80], v[18:19], -v[32:33]
	v_add_f64 v[60:61], v[38:39], -v[52:53]
	v_add_f64 v[38:39], v[1:2], -v[38:39]
	v_add_f64 v[1:2], v[1:2], -v[34:35]
	v_add_f64 v[34:35], v[34:35], -v[52:53]
	v_fma_f64 v[81:82], v[70:71], s[6:7], v[15:16]
	v_add_f64 v[83:84], v[24:25], -v[46:47]
	v_fma_f64 v[15:16], v[70:71], s[10:11], v[15:16]
	v_fma_f64 v[62:63], v[62:63], -0.5, v[54:55]
	v_add_f64 v[85:86], v[20:21], -v[24:25]
	v_add_f64 v[87:88], v[44:45], -v[46:47]
	v_fma_f64 v[89:90], v[64:65], -0.5, v[54:55]
	v_add_f64 v[68:69], v[66:67], v[68:69]
	v_add_f64 v[66:67], v[22:23], -v[28:29]
	v_add_f64 v[5:6], v[5:6], v[52:53]
	v_fma_f64 v[52:53], v[79:80], s[6:7], v[56:57]
	v_fma_f64 v[56:57], v[79:80], s[10:11], v[56:57]
	v_add_f64 v[34:35], v[38:39], v[34:35]
	v_fma_f64 v[15:16], v[83:84], s[12:13], v[15:16]
	v_fma_f64 v[64:65], v[1:2], s[10:11], v[62:63]
	v_fma_f64 v[38:39], v[83:84], s[18:19], v[81:82]
	v_add_f64 v[85:86], v[85:86], v[87:88]
	v_fma_f64 v[87:88], v[60:61], s[6:7], v[89:90]
	;; [unrolled: 4-line block ×3, first 2 shown]
	v_fma_f64 v[15:16], v[83:84], s[6:7], v[58:59]
	v_fma_f64 v[91:92], v[60:61], s[12:13], v[64:65]
	;; [unrolled: 1-line block ×7, first 2 shown]
	v_add_f64 v[13:14], v[13:14], v[30:31]
	v_fma_f64 v[15:16], v[70:71], s[12:13], v[15:16]
	v_fma_f64 v[58:59], v[85:86], s[16:17], v[91:92]
	;; [unrolled: 1-line block ×10, first 2 shown]
	v_add_f64 v[13:14], v[13:14], v[48:49]
	v_fma_f64 v[38:39], v[79:80], s[18:19], v[83:84]
	v_fma_f64 v[70:71], v[77:78], s[16:17], v[34:35]
	v_mul_f64 v[15:16], v[60:61], s[18:19]
	v_mul_f64 v[34:35], v[58:59], s[10:11]
	v_fma_f64 v[10:11], v[79:80], s[12:13], v[10:11]
	v_mul_f64 v[77:78], v[56:57], s[16:17]
	v_fma_f64 v[68:69], v[68:69], s[16:17], v[1:2]
	;; [unrolled: 2-line block ×3, first 2 shown]
	v_add_f64 v[13:14], v[13:14], v[50:51]
	v_fma_f64 v[38:39], v[75:76], s[16:17], v[38:39]
	v_fma_f64 v[15:16], v[70:71], s[20:21], v[15:16]
	v_fma_f64 v[34:35], v[64:65], s[16:17], v[34:35]
	v_fma_f64 v[73:74], v[73:74], s[16:17], v[81:82]
	v_fma_f64 v[10:11], v[75:76], s[16:17], v[10:11]
	v_fma_f64 v[75:76], v[66:67], s[10:11], -v[77:78]
	v_fma_f64 v[1:2], v[68:69], s[18:19], -v[1:2]
	v_add_f64 v[77:78], v[13:14], v[5:6]
	v_add_f64 v[5:6], v[13:14], -v[5:6]
	v_add_f64 v[13:14], v[38:39], v[15:16]
	v_add_f64 v[15:16], v[38:39], -v[15:16]
	v_add_f64 v[38:39], v[52:53], v[34:35]
	v_add_f64 v[52:53], v[52:53], -v[34:35]
	v_add_f64 v[79:80], v[73:74], v[75:76]
	v_add_f64 v[75:76], v[73:74], -v[75:76]
	v_add_f64 v[34:35], v[10:11], -v[1:2]
	v_add_f64 v[81:82], v[10:11], v[1:2]
	v_lshlrev_b32_sdwa v1, v3, v93 dst_sel:DWORD dst_unused:UNUSED_PAD src0_sel:DWORD src1_sel:BYTE_0
	v_mul_u32_u24_e32 v2, 0xfa0, v17
	v_add3_u32 v73, 0, v2, v1
	v_add_u32_e32 v74, 0x800, v73
	v_add_u32_e32 v10, 0x1400, v0
	s_barrier
	ds_write2_b64 v73, v[77:78], v[13:14] offset1:50
	ds_write2_b64 v73, v[38:39], v[79:80] offset0:100 offset1:150
	ds_write2_b64 v73, v[81:82], v[5:6] offset0:200 offset1:250
	;; [unrolled: 1-line block ×4, first 2 shown]
	s_waitcnt lgkmcnt(0)
	s_barrier
	ds_read_b64 v[52:53], v0 offset:10400
	ds_read2_b64 v[0:3], v0 offset1:150
	ds_read2_b64 v[4:7], v4 offset0:44 offset1:244
	ds_read2_b64 v[14:17], v12 offset0:104 offset1:254
	;; [unrolled: 1-line block ×3, first 2 shown]
	v_add_u32_e32 v75, v36, v37
                                        ; implicit-def: $vgpr36_vgpr37
                                        ; implicit-def: $vgpr38_vgpr39
	s_and_saveexec_b64 s[22:23], s[2:3]
	s_cbranch_execz .LBB0_15
; %bb.14:
	ds_read_b64 v[34:35], v75 offset:3600
	ds_read_b64 v[38:39], v75 offset:7600
	;; [unrolled: 1-line block ×3, first 2 shown]
.LBB0_15:
	s_or_b64 exec, exec, s[22:23]
	v_add_f64 v[76:77], v[18:19], v[32:33]
	v_add_f64 v[78:79], v[22:23], v[28:29]
	;; [unrolled: 1-line block ×3, first 2 shown]
	v_add_f64 v[26:27], v[26:27], -v[50:51]
	v_add_f64 v[30:31], v[30:31], -v[48:49]
	v_add_f64 v[24:25], v[54:55], v[24:25]
	v_add_f64 v[48:49], v[22:23], -v[18:19]
	v_add_f64 v[50:51], v[28:29], -v[32:33]
	v_fma_f64 v[76:77], v[76:77], -0.5, v[8:9]
	v_fma_f64 v[8:9], v[78:79], -0.5, v[8:9]
	v_add_f64 v[22:23], v[18:19], -v[22:23]
	v_add_f64 v[78:79], v[32:33], -v[28:29]
	v_mul_f64 v[54:55], v[70:71], s[12:13]
	v_add_f64 v[18:19], v[80:81], v[18:19]
	v_add_f64 v[20:21], v[24:25], v[20:21]
	;; [unrolled: 1-line block ×3, first 2 shown]
	v_fma_f64 v[70:71], v[26:27], s[6:7], v[76:77]
	v_fma_f64 v[76:77], v[26:27], s[10:11], v[76:77]
	;; [unrolled: 1-line block ×4, first 2 shown]
	v_add_f64 v[22:23], v[22:23], v[78:79]
	v_add_f64 v[18:19], v[18:19], v[32:33]
	;; [unrolled: 1-line block ×3, first 2 shown]
	v_mul_f64 v[64:65], v[64:65], s[6:7]
	v_fma_f64 v[32:33], v[30:31], s[12:13], v[70:71]
	v_fma_f64 v[30:31], v[30:31], s[18:19], v[76:77]
	;; [unrolled: 1-line block ×4, first 2 shown]
	v_mul_f64 v[26:27], v[66:67], s[16:17]
	v_mul_f64 v[44:45], v[68:69], s[20:21]
	v_add_f64 v[18:19], v[18:19], v[28:29]
	v_add_f64 v[20:21], v[20:21], v[46:47]
	v_fma_f64 v[28:29], v[24:25], s[16:17], v[32:33]
	v_fma_f64 v[24:25], v[24:25], s[16:17], v[30:31]
	;; [unrolled: 1-line block ×6, first 2 shown]
	v_fma_f64 v[26:27], v[56:57], s[6:7], -v[26:27]
	v_fma_f64 v[44:45], v[62:63], s[12:13], -v[44:45]
	v_add_f64 v[46:47], v[18:19], v[20:21]
	v_add_f64 v[18:19], v[18:19], -v[20:21]
	s_waitcnt lgkmcnt(0)
	s_barrier
	v_add_f64 v[48:49], v[28:29], v[22:23]
	v_add_f64 v[50:51], v[30:31], v[32:33]
	;; [unrolled: 1-line block ×4, first 2 shown]
	v_add_f64 v[20:21], v[28:29], -v[22:23]
	v_add_f64 v[22:23], v[30:31], -v[32:33]
	;; [unrolled: 1-line block ×4, first 2 shown]
	ds_write2_b64 v73, v[46:47], v[48:49] offset1:50
	ds_write2_b64 v73, v[50:51], v[54:55] offset0:100 offset1:150
	ds_write2_b64 v73, v[56:57], v[18:19] offset0:200 offset1:250
	;; [unrolled: 1-line block ×4, first 2 shown]
	v_add_u32_e32 v26, 0x1c00, v75
	s_waitcnt lgkmcnt(0)
	s_barrier
	v_add_u32_e32 v18, 0x800, v75
	ds_read2_b64 v[30:33], v26 offset0:104 offset1:254
	v_add_u32_e32 v26, 0x1400, v75
	ds_read2_b64 v[22:25], v75 offset1:150
	ds_read2_b64 v[18:21], v18 offset0:44 offset1:244
	ds_read2_b64 v[26:29], v26 offset0:10 offset1:160
	ds_read_b64 v[50:51], v75 offset:10400
                                        ; implicit-def: $vgpr46_vgpr47
                                        ; implicit-def: $vgpr48_vgpr49
	s_and_saveexec_b64 s[6:7], s[2:3]
	s_cbranch_execz .LBB0_17
; %bb.16:
	ds_read_b64 v[8:9], v75 offset:3600
	ds_read_b64 v[48:49], v75 offset:7600
	;; [unrolled: 1-line block ×3, first 2 shown]
.LBB0_17:
	s_or_b64 exec, exec, s[6:7]
	s_and_saveexec_b64 s[6:7], s[0:1]
	s_cbranch_execz .LBB0_20
; %bb.18:
	v_lshlrev_b32_e32 v54, 1, v72
	v_add_u32_e32 v44, 0x258, v54
	v_mov_b32_e32 v45, 0
	v_lshlrev_b64 v[55:56], 4, v[44:45]
	v_mov_b32_e32 v57, s9
	v_add_co_u32_e32 v44, vcc, s8, v55
	v_addc_co_u32_e32 v77, vcc, v57, v56, vcc
	s_movk_i32 s6, 0x1ef0
	v_add_co_u32_e32 v70, vcc, s6, v44
	v_addc_co_u32_e32 v71, vcc, 0, v77, vcc
	s_movk_i32 s10, 0x1000
	v_add_co_u32_e32 v81, vcc, s10, v44
	v_add_u32_e32 v44, 0x12c, v54
	v_lshlrev_b64 v[55:56], 4, v[44:45]
	v_addc_co_u32_e32 v82, vcc, 0, v77, vcc
	v_add_co_u32_e64 v44, s[0:1], s8, v55
	v_addc_co_u32_e64 v66, s[0:1], v57, v56, s[0:1]
	v_mov_b32_e32 v55, v45
	v_add_co_u32_e64 v73, s[0:1], s6, v44
	v_lshlrev_b64 v[54:55], 4, v[54:55]
	v_addc_co_u32_e64 v74, s[0:1], 0, v66, s[0:1]
	v_add_co_u32_e64 v54, s[0:1], s8, v54
	v_addc_co_u32_e64 v55, s[0:1], v57, v55, s[0:1]
	v_add_co_u32_e64 v62, s[0:1], s6, v54
	;; [unrolled: 2-line block ×4, first 2 shown]
	v_addc_co_u32_e64 v76, s[0:1], 0, v66, s[0:1]
	global_load_dwordx4 v[54:57], v[64:65], off offset:3824
	global_load_dwordx4 v[58:61], v[62:63], off offset:16
	s_nop 0
	global_load_dwordx4 v[62:65], v[75:76], off offset:3824
	global_load_dwordx4 v[66:69], v[73:74], off offset:16
	s_nop 0
	global_load_dwordx4 v[73:76], v[81:82], off offset:3824
	global_load_dwordx4 v[77:80], v[70:71], off offset:16
	v_mul_lo_u32 v44, s5, v42
	v_mul_lo_u32 v70, s4, v43
	v_mad_u64_u32 v[42:43], s[0:1], s4, v42, 0
	s_mov_b32 s4, 0xe8584caa
	s_mov_b32 s5, 0x3febb67a
	v_add3_u32 v43, v43, v70, v44
	s_mov_b32 s7, 0xbfebb67a
	s_mov_b32 s6, s4
	;; [unrolled: 1-line block ×3, first 2 shown]
	v_mul_hi_u32 v44, v72, s0
	s_movk_i32 s11, 0x3000
	s_movk_i32 s1, 0x1f4
	s_waitcnt vmcnt(5) lgkmcnt(2)
	v_mul_f64 v[70:71], v[20:21], v[56:57]
	v_mul_f64 v[56:57], v[6:7], v[56:57]
	s_waitcnt vmcnt(3) lgkmcnt(1)
	v_mul_f64 v[83:84], v[26:27], v[64:65]
	s_waitcnt vmcnt(2)
	v_mul_f64 v[85:86], v[32:33], v[68:69]
	v_mul_f64 v[81:82], v[30:31], v[60:61]
	;; [unrolled: 1-line block ×5, first 2 shown]
	s_waitcnt vmcnt(1)
	v_mul_f64 v[87:88], v[28:29], v[75:76]
	s_waitcnt vmcnt(0) lgkmcnt(0)
	v_mul_f64 v[89:90], v[50:51], v[79:80]
	v_mul_f64 v[75:76], v[12:13], v[75:76]
	v_mul_f64 v[79:80], v[52:53], v[79:80]
	v_fma_f64 v[70:71], v[6:7], v[54:55], -v[70:71]
	v_fma_f64 v[54:55], v[20:21], v[54:55], v[56:57]
	v_fma_f64 v[6:7], v[10:11], v[62:63], -v[83:84]
	v_fma_f64 v[56:57], v[16:17], v[66:67], -v[85:86]
	;; [unrolled: 1-line block ×3, first 2 shown]
	v_fma_f64 v[30:31], v[30:31], v[58:59], v[60:61]
	v_fma_f64 v[10:11], v[26:27], v[62:63], v[64:65]
	;; [unrolled: 1-line block ×3, first 2 shown]
	v_fma_f64 v[12:13], v[12:13], v[73:74], -v[87:88]
	v_fma_f64 v[16:17], v[52:53], v[77:78], -v[89:90]
	v_fma_f64 v[20:21], v[28:29], v[73:74], v[75:76]
	v_fma_f64 v[26:27], v[50:51], v[77:78], v[79:80]
	v_add_f64 v[64:65], v[6:7], v[56:57]
	v_add_f64 v[28:29], v[54:55], v[30:31]
	;; [unrolled: 1-line block ×5, first 2 shown]
	v_add_f64 v[66:67], v[10:11], -v[14:15]
	v_add_f64 v[68:69], v[2:3], v[6:7]
	v_add_f64 v[10:11], v[20:21], v[26:27]
	;; [unrolled: 1-line block ×3, first 2 shown]
	v_fma_f64 v[2:3], v[64:65], -0.5, v[2:3]
	v_add_f64 v[58:59], v[22:23], v[54:55]
	v_fma_f64 v[83:84], v[28:29], -0.5, v[22:23]
	v_fma_f64 v[22:23], v[60:61], -0.5, v[24:25]
	v_fma_f64 v[60:61], v[32:33], -0.5, v[0:1]
	v_add_f64 v[0:1], v[0:1], v[70:71]
	v_add_f64 v[50:51], v[70:71], -v[81:82]
	v_add_f64 v[52:53], v[6:7], -v[56:57]
	v_add_f64 v[75:76], v[18:19], v[20:21]
	v_add_f64 v[79:80], v[20:21], -v[26:27]
	v_add_f64 v[20:21], v[4:5], v[12:13]
	v_add_f64 v[6:7], v[62:63], v[14:15]
	v_fma_f64 v[28:29], v[10:11], -0.5, v[18:19]
	v_fma_f64 v[4:5], v[77:78], -0.5, v[4:5]
	v_fma_f64 v[14:15], v[66:67], s[6:7], v[2:3]
	v_fma_f64 v[18:19], v[66:67], s[4:5], v[2:3]
	v_add_f64 v[2:3], v[54:55], -v[30:31]
	v_add_f64 v[54:55], v[0:1], v[81:82]
	v_lshrrev_b32_e32 v0, 5, v44
	v_mul_u32_u24_e32 v0, 0x1f4, v0
	v_sub_u32_e32 v44, v72, v0
	v_lshlrev_b64 v[0:1], 4, v[42:43]
	v_add_f64 v[73:74], v[12:13], -v[16:17]
	v_add_f64 v[12:13], v[75:76], v[26:27]
	v_add_f64 v[10:11], v[20:21], v[16:17]
	v_fma_f64 v[16:17], v[52:53], s[4:5], v[22:23]
	v_fma_f64 v[20:21], v[52:53], s[6:7], v[22:23]
	;; [unrolled: 1-line block ×4, first 2 shown]
	v_add_f64 v[4:5], v[68:69], v[56:57]
	v_fma_f64 v[32:33], v[50:51], s[4:5], v[83:84]
	v_fma_f64 v[52:53], v[50:51], s[6:7], v[83:84]
	v_add_f64 v[56:57], v[58:59], v[30:31]
	v_fma_f64 v[30:31], v[2:3], s[6:7], v[60:61]
	v_fma_f64 v[50:51], v[2:3], s[4:5], v[60:61]
	v_mov_b32_e32 v2, s15
	v_add_co_u32_e32 v3, vcc, s14, v0
	v_addc_co_u32_e32 v42, vcc, v2, v1, vcc
	v_lshlrev_b64 v[0:1], 4, v[40:41]
	v_fma_f64 v[24:25], v[73:74], s[4:5], v[28:29]
	v_add_co_u32_e32 v2, vcc, v3, v0
	v_addc_co_u32_e32 v3, vcc, v42, v1, vcc
	v_lshlrev_b32_e32 v0, 4, v44
	v_add_co_u32_e32 v0, vcc, v2, v0
	v_addc_co_u32_e32 v1, vcc, 0, v3, vcc
	v_add_co_u32_e32 v40, vcc, s10, v0
	v_addc_co_u32_e32 v41, vcc, 0, v1, vcc
	global_store_dwordx4 v[40:41], v[50:53], off offset:3904
	v_add_u32_e32 v40, 0x96, v72
	v_mul_hi_u32 v41, v40, s0
	global_store_dwordx4 v[0:1], v[54:57], off
	v_add_co_u32_e32 v0, vcc, s11, v0
	v_addc_co_u32_e32 v1, vcc, 0, v1, vcc
	global_store_dwordx4 v[0:1], v[30:33], off offset:3712
	v_lshrrev_b32_e32 v0, 5, v41
	v_mul_u32_u24_e32 v1, 0x1f4, v0
	v_sub_u32_e32 v1, v40, v1
	s_movk_i32 s11, 0x5dc
	v_mad_u32_u24 v44, v0, s11, v1
	v_lshlrev_b64 v[0:1], 4, v[44:45]
	v_fma_f64 v[28:29], v[73:74], s[6:7], v[28:29]
	v_add_co_u32_e32 v0, vcc, v2, v0
	v_addc_co_u32_e32 v1, vcc, v3, v1, vcc
	global_store_dwordx4 v[0:1], v[4:7], off
	v_add_u32_e32 v0, 0x1f4, v44
	v_mov_b32_e32 v1, v45
	v_lshlrev_b64 v[0:1], 4, v[0:1]
	v_add_u32_e32 v44, 0x3e8, v44
	v_add_co_u32_e32 v0, vcc, v2, v0
	v_addc_co_u32_e32 v1, vcc, v3, v1, vcc
	v_add_u32_e32 v4, 0x12c, v72
	global_store_dwordx4 v[0:1], v[18:21], off
	v_lshlrev_b64 v[0:1], 4, v[44:45]
	v_mul_hi_u32 v5, v4, s0
	v_add_co_u32_e32 v0, vcc, v2, v0
	v_addc_co_u32_e32 v1, vcc, v3, v1, vcc
	global_store_dwordx4 v[0:1], v[14:17], off
	v_lshrrev_b32_e32 v0, 5, v5
	v_mul_u32_u24_e32 v1, 0x1f4, v0
	v_sub_u32_e32 v1, v4, v1
	v_mad_u32_u24 v44, v0, s11, v1
	v_lshlrev_b64 v[0:1], 4, v[44:45]
	v_add_co_u32_e32 v0, vcc, v2, v0
	v_addc_co_u32_e32 v1, vcc, v3, v1, vcc
	global_store_dwordx4 v[0:1], v[10:13], off
	v_add_u32_e32 v0, 0x1f4, v44
	v_mov_b32_e32 v1, v45
	v_lshlrev_b64 v[0:1], 4, v[0:1]
	v_add_u32_e32 v44, 0x3e8, v44
	v_add_co_u32_e32 v0, vcc, v2, v0
	v_addc_co_u32_e32 v1, vcc, v3, v1, vcc
	global_store_dwordx4 v[0:1], v[26:29], off
	v_lshlrev_b64 v[0:1], 4, v[44:45]
	v_add_co_u32_e32 v0, vcc, v2, v0
	v_addc_co_u32_e32 v1, vcc, v3, v1, vcc
	global_store_dwordx4 v[0:1], v[22:25], off
	v_add_u32_e32 v0, 0x1c2, v72
	v_cmp_gt_u32_e32 vcc, s1, v0
	s_and_b64 exec, exec, vcc
	s_cbranch_execz .LBB0_20
; %bb.19:
	v_not_b32_e32 v1, 49
	v_mov_b32_e32 v4, 0x1c2
	v_cndmask_b32_e64 v1, v1, v4, s[2:3]
	v_add_lshl_u32 v44, v72, v1, 1
	v_lshlrev_b64 v[4:5], 4, v[44:45]
	v_mov_b32_e32 v1, s9
	v_add_co_u32_e32 v4, vcc, s8, v4
	v_addc_co_u32_e32 v1, vcc, v1, v5, vcc
	v_add_co_u32_e32 v10, vcc, 0x1ef0, v4
	s_mov_b64 s[0:1], vcc
	v_add_co_u32_e32 v4, vcc, s10, v4
	v_addc_co_u32_e32 v5, vcc, 0, v1, vcc
	v_addc_co_u32_e64 v11, vcc, 0, v1, s[0:1]
	global_load_dwordx4 v[4:7], v[4:5], off offset:3824
	v_mov_b32_e32 v1, v45
	global_load_dwordx4 v[10:13], v[10:11], off offset:16
	v_lshlrev_b64 v[0:1], 4, v[0:1]
	v_add_u32_e32 v44, 0x3b6, v72
	v_add_co_u32_e32 v0, vcc, v2, v0
	v_lshlrev_b64 v[24:25], 4, v[44:45]
	v_addc_co_u32_e32 v1, vcc, v3, v1, vcc
	v_add_u32_e32 v44, 0x5aa, v72
	v_lshlrev_b64 v[26:27], 4, v[44:45]
	s_waitcnt vmcnt(1)
	v_mul_f64 v[14:15], v[48:49], v[6:7]
	v_mul_f64 v[6:7], v[38:39], v[6:7]
	s_waitcnt vmcnt(0)
	v_mul_f64 v[16:17], v[46:47], v[12:13]
	v_mul_f64 v[12:13], v[36:37], v[12:13]
	v_fma_f64 v[14:15], v[38:39], v[4:5], -v[14:15]
	v_fma_f64 v[4:5], v[48:49], v[4:5], v[6:7]
	v_fma_f64 v[6:7], v[36:37], v[10:11], -v[16:17]
	v_fma_f64 v[10:11], v[46:47], v[10:11], v[12:13]
	v_add_f64 v[18:19], v[34:35], v[14:15]
	v_add_f64 v[22:23], v[8:9], v[4:5]
	;; [unrolled: 1-line block ×4, first 2 shown]
	v_add_f64 v[20:21], v[4:5], -v[10:11]
	v_add_f64 v[14:15], v[14:15], -v[6:7]
	v_add_f64 v[4:5], v[18:19], v[6:7]
	v_add_f64 v[6:7], v[22:23], v[10:11]
	v_fma_f64 v[12:13], v[12:13], -0.5, v[34:35]
	v_fma_f64 v[16:17], v[16:17], -0.5, v[8:9]
	v_fma_f64 v[8:9], v[20:21], s[4:5], v[12:13]
	v_fma_f64 v[10:11], v[14:15], s[6:7], v[16:17]
	;; [unrolled: 1-line block ×4, first 2 shown]
	v_add_co_u32_e32 v16, vcc, v2, v24
	v_addc_co_u32_e32 v17, vcc, v3, v25, vcc
	v_add_co_u32_e32 v2, vcc, v2, v26
	v_addc_co_u32_e32 v3, vcc, v3, v27, vcc
	global_store_dwordx4 v[0:1], v[4:7], off
	global_store_dwordx4 v[16:17], v[8:11], off
	;; [unrolled: 1-line block ×3, first 2 shown]
.LBB0_20:
	s_endpgm
	.section	.rodata,"a",@progbits
	.p2align	6, 0x0
	.amdhsa_kernel fft_rtc_fwd_len1500_factors_5_10_10_3_wgs_150_tpt_150_halfLds_dp_op_CI_CI_unitstride_sbrr_dirReg
		.amdhsa_group_segment_fixed_size 0
		.amdhsa_private_segment_fixed_size 0
		.amdhsa_kernarg_size 104
		.amdhsa_user_sgpr_count 6
		.amdhsa_user_sgpr_private_segment_buffer 1
		.amdhsa_user_sgpr_dispatch_ptr 0
		.amdhsa_user_sgpr_queue_ptr 0
		.amdhsa_user_sgpr_kernarg_segment_ptr 1
		.amdhsa_user_sgpr_dispatch_id 0
		.amdhsa_user_sgpr_flat_scratch_init 0
		.amdhsa_user_sgpr_private_segment_size 0
		.amdhsa_uses_dynamic_stack 0
		.amdhsa_system_sgpr_private_segment_wavefront_offset 0
		.amdhsa_system_sgpr_workgroup_id_x 1
		.amdhsa_system_sgpr_workgroup_id_y 0
		.amdhsa_system_sgpr_workgroup_id_z 0
		.amdhsa_system_sgpr_workgroup_info 0
		.amdhsa_system_vgpr_workitem_id 0
		.amdhsa_next_free_vgpr 100
		.amdhsa_next_free_sgpr 28
		.amdhsa_reserve_vcc 1
		.amdhsa_reserve_flat_scratch 0
		.amdhsa_float_round_mode_32 0
		.amdhsa_float_round_mode_16_64 0
		.amdhsa_float_denorm_mode_32 3
		.amdhsa_float_denorm_mode_16_64 3
		.amdhsa_dx10_clamp 1
		.amdhsa_ieee_mode 1
		.amdhsa_fp16_overflow 0
		.amdhsa_exception_fp_ieee_invalid_op 0
		.amdhsa_exception_fp_denorm_src 0
		.amdhsa_exception_fp_ieee_div_zero 0
		.amdhsa_exception_fp_ieee_overflow 0
		.amdhsa_exception_fp_ieee_underflow 0
		.amdhsa_exception_fp_ieee_inexact 0
		.amdhsa_exception_int_div_zero 0
	.end_amdhsa_kernel
	.text
.Lfunc_end0:
	.size	fft_rtc_fwd_len1500_factors_5_10_10_3_wgs_150_tpt_150_halfLds_dp_op_CI_CI_unitstride_sbrr_dirReg, .Lfunc_end0-fft_rtc_fwd_len1500_factors_5_10_10_3_wgs_150_tpt_150_halfLds_dp_op_CI_CI_unitstride_sbrr_dirReg
                                        ; -- End function
	.section	.AMDGPU.csdata,"",@progbits
; Kernel info:
; codeLenInByte = 8148
; NumSgprs: 32
; NumVgprs: 100
; ScratchSize: 0
; MemoryBound: 1
; FloatMode: 240
; IeeeMode: 1
; LDSByteSize: 0 bytes/workgroup (compile time only)
; SGPRBlocks: 3
; VGPRBlocks: 24
; NumSGPRsForWavesPerEU: 32
; NumVGPRsForWavesPerEU: 100
; Occupancy: 2
; WaveLimiterHint : 1
; COMPUTE_PGM_RSRC2:SCRATCH_EN: 0
; COMPUTE_PGM_RSRC2:USER_SGPR: 6
; COMPUTE_PGM_RSRC2:TRAP_HANDLER: 0
; COMPUTE_PGM_RSRC2:TGID_X_EN: 1
; COMPUTE_PGM_RSRC2:TGID_Y_EN: 0
; COMPUTE_PGM_RSRC2:TGID_Z_EN: 0
; COMPUTE_PGM_RSRC2:TIDIG_COMP_CNT: 0
	.type	__hip_cuid_ac57d8d434d41361,@object ; @__hip_cuid_ac57d8d434d41361
	.section	.bss,"aw",@nobits
	.globl	__hip_cuid_ac57d8d434d41361
__hip_cuid_ac57d8d434d41361:
	.byte	0                               ; 0x0
	.size	__hip_cuid_ac57d8d434d41361, 1

	.ident	"AMD clang version 19.0.0git (https://github.com/RadeonOpenCompute/llvm-project roc-6.4.0 25133 c7fe45cf4b819c5991fe208aaa96edf142730f1d)"
	.section	".note.GNU-stack","",@progbits
	.addrsig
	.addrsig_sym __hip_cuid_ac57d8d434d41361
	.amdgpu_metadata
---
amdhsa.kernels:
  - .args:
      - .actual_access:  read_only
        .address_space:  global
        .offset:         0
        .size:           8
        .value_kind:     global_buffer
      - .offset:         8
        .size:           8
        .value_kind:     by_value
      - .actual_access:  read_only
        .address_space:  global
        .offset:         16
        .size:           8
        .value_kind:     global_buffer
      - .actual_access:  read_only
        .address_space:  global
        .offset:         24
        .size:           8
        .value_kind:     global_buffer
      - .actual_access:  read_only
        .address_space:  global
        .offset:         32
        .size:           8
        .value_kind:     global_buffer
      - .offset:         40
        .size:           8
        .value_kind:     by_value
      - .actual_access:  read_only
        .address_space:  global
        .offset:         48
        .size:           8
        .value_kind:     global_buffer
      - .actual_access:  read_only
        .address_space:  global
        .offset:         56
        .size:           8
        .value_kind:     global_buffer
      - .offset:         64
        .size:           4
        .value_kind:     by_value
      - .actual_access:  read_only
        .address_space:  global
        .offset:         72
        .size:           8
        .value_kind:     global_buffer
      - .actual_access:  read_only
        .address_space:  global
        .offset:         80
        .size:           8
        .value_kind:     global_buffer
      - .actual_access:  read_only
        .address_space:  global
        .offset:         88
        .size:           8
        .value_kind:     global_buffer
      - .actual_access:  write_only
        .address_space:  global
        .offset:         96
        .size:           8
        .value_kind:     global_buffer
    .group_segment_fixed_size: 0
    .kernarg_segment_align: 8
    .kernarg_segment_size: 104
    .language:       OpenCL C
    .language_version:
      - 2
      - 0
    .max_flat_workgroup_size: 150
    .name:           fft_rtc_fwd_len1500_factors_5_10_10_3_wgs_150_tpt_150_halfLds_dp_op_CI_CI_unitstride_sbrr_dirReg
    .private_segment_fixed_size: 0
    .sgpr_count:     32
    .sgpr_spill_count: 0
    .symbol:         fft_rtc_fwd_len1500_factors_5_10_10_3_wgs_150_tpt_150_halfLds_dp_op_CI_CI_unitstride_sbrr_dirReg.kd
    .uniform_work_group_size: 1
    .uses_dynamic_stack: false
    .vgpr_count:     100
    .vgpr_spill_count: 0
    .wavefront_size: 64
amdhsa.target:   amdgcn-amd-amdhsa--gfx906
amdhsa.version:
  - 1
  - 2
...

	.end_amdgpu_metadata
